;; amdgpu-corpus repo=ROCm/rocFFT kind=compiled arch=gfx906 opt=O3
	.text
	.amdgcn_target "amdgcn-amd-amdhsa--gfx906"
	.amdhsa_code_object_version 6
	.protected	fft_rtc_fwd_len125_factors_5_5_5_wgs_500_tpt_25_dim3_sp_ip_CI_sbcc_twdbase8_2step_dirReg ; -- Begin function fft_rtc_fwd_len125_factors_5_5_5_wgs_500_tpt_25_dim3_sp_ip_CI_sbcc_twdbase8_2step_dirReg
	.globl	fft_rtc_fwd_len125_factors_5_5_5_wgs_500_tpt_25_dim3_sp_ip_CI_sbcc_twdbase8_2step_dirReg
	.p2align	8
	.type	fft_rtc_fwd_len125_factors_5_5_5_wgs_500_tpt_25_dim3_sp_ip_CI_sbcc_twdbase8_2step_dirReg,@function
fft_rtc_fwd_len125_factors_5_5_5_wgs_500_tpt_25_dim3_sp_ip_CI_sbcc_twdbase8_2step_dirReg: ; @fft_rtc_fwd_len125_factors_5_5_5_wgs_500_tpt_25_dim3_sp_ip_CI_sbcc_twdbase8_2step_dirReg
; %bb.0:
	s_load_dwordx4 s[0:3], s[4:5], 0x10
	s_mov_b32 s7, 0
	s_mov_b64 s[20:21], 0
	s_waitcnt lgkmcnt(0)
	s_load_dwordx2 s[16:17], s[0:1], 0x8
	s_waitcnt lgkmcnt(0)
	s_add_u32 s8, s16, -1
	s_addc_u32 s9, s17, -1
	s_add_u32 s10, 0, 0xcccc3000
	s_addc_u32 s11, 0, 44
	s_mul_hi_u32 s13, s10, 0xffffffec
	s_add_i32 s11, s11, 0xccccca0
	s_sub_i32 s13, s13, s10
	s_mul_i32 s18, s11, 0xffffffec
	s_mul_i32 s12, s10, 0xffffffec
	s_add_i32 s13, s13, s18
	s_mul_hi_u32 s14, s11, s12
	s_mul_i32 s15, s11, s12
	s_mul_i32 s19, s10, s13
	s_mul_hi_u32 s12, s10, s12
	s_mul_hi_u32 s18, s10, s13
	s_add_u32 s12, s12, s19
	s_addc_u32 s18, 0, s18
	s_add_u32 s12, s12, s15
	s_mul_hi_u32 s19, s11, s13
	s_addc_u32 s12, s18, s14
	s_addc_u32 s14, s19, 0
	s_mul_i32 s13, s11, s13
	s_add_u32 s12, s12, s13
	v_mov_b32_e32 v1, s12
	s_addc_u32 s13, 0, s14
	v_add_co_u32_e32 v1, vcc, s10, v1
	s_cmp_lg_u64 vcc, 0
	s_addc_u32 s10, s11, s13
	v_readfirstlane_b32 s13, v1
	s_mul_i32 s12, s8, s10
	s_mul_hi_u32 s14, s8, s13
	s_mul_hi_u32 s11, s8, s10
	s_add_u32 s12, s14, s12
	s_addc_u32 s11, 0, s11
	s_mul_hi_u32 s15, s9, s13
	s_mul_i32 s13, s9, s13
	s_add_u32 s12, s12, s13
	s_mul_hi_u32 s14, s9, s10
	s_addc_u32 s11, s11, s15
	s_addc_u32 s12, s14, 0
	s_mul_i32 s10, s9, s10
	s_add_u32 s10, s11, s10
	s_addc_u32 s11, 0, s12
	s_add_u32 s12, s10, 1
	s_addc_u32 s13, s11, 0
	s_add_u32 s14, s10, 2
	s_mul_i32 s18, s11, 20
	s_mul_hi_u32 s19, s10, 20
	s_addc_u32 s15, s11, 0
	s_add_i32 s19, s19, s18
	s_mul_i32 s18, s10, 20
	v_mov_b32_e32 v1, s18
	v_sub_co_u32_e32 v1, vcc, s8, v1
	s_cmp_lg_u64 vcc, 0
	s_subb_u32 s8, s9, s19
	v_subrev_co_u32_e32 v2, vcc, 20, v1
	s_cmp_lg_u64 vcc, 0
	s_subb_u32 s9, s8, 0
	v_readfirstlane_b32 s18, v2
	s_cmp_gt_u32 s18, 19
	s_cselect_b32 s18, -1, 0
	s_cmp_eq_u32 s9, 0
	s_cselect_b32 s9, s18, -1
	s_cmp_lg_u32 s9, 0
	s_cselect_b32 s9, s14, s12
	s_cselect_b32 s12, s15, s13
	v_readfirstlane_b32 s13, v1
	s_cmp_gt_u32 s13, 19
	s_cselect_b32 s13, -1, 0
	s_cmp_eq_u32 s8, 0
	s_cselect_b32 s8, s13, -1
	s_cmp_lg_u32 s8, 0
	s_cselect_b32 s9, s9, s10
	s_cselect_b32 s8, s12, s11
	s_add_u32 s18, s9, 1
	s_addc_u32 s19, s8, 0
	v_mov_b32_e32 v1, s18
	v_mov_b32_e32 v2, s19
	v_cmp_lt_u64_e32 vcc, s[6:7], v[1:2]
	s_cbranch_vccnz .LBB0_2
; %bb.1:
	v_cvt_f32_u32_e32 v1, s18
	s_sub_i32 s8, 0, s18
	s_mov_b32 s21, s7
	v_rcp_iflag_f32_e32 v1, v1
	v_mul_f32_e32 v1, 0x4f7ffffe, v1
	v_cvt_u32_f32_e32 v1, v1
	v_readfirstlane_b32 s9, v1
	s_mul_i32 s8, s8, s9
	s_mul_hi_u32 s8, s9, s8
	s_add_i32 s9, s9, s8
	s_mul_hi_u32 s8, s6, s9
	s_mul_i32 s10, s8, s18
	s_sub_i32 s10, s6, s10
	s_add_i32 s9, s8, 1
	s_sub_i32 s11, s10, s18
	s_cmp_ge_u32 s10, s18
	s_cselect_b32 s8, s9, s8
	s_cselect_b32 s10, s11, s10
	s_add_i32 s9, s8, 1
	s_cmp_ge_u32 s10, s18
	s_cselect_b32 s20, s9, s8
.LBB0_2:
	s_load_dwordx2 s[8:9], s[0:1], 0x10
	s_load_dwordx2 s[10:11], s[2:3], 0x8
	s_mov_b64 s[0:1], s[20:21]
	s_waitcnt lgkmcnt(0)
	v_mov_b32_e32 v1, s8
	v_mov_b32_e32 v2, s9
	v_cmp_lt_u64_e32 vcc, s[20:21], v[1:2]
	s_cbranch_vccnz .LBB0_4
; %bb.3:
	v_cvt_f32_u32_e32 v1, s8
	s_sub_i32 s0, 0, s8
	v_rcp_iflag_f32_e32 v1, v1
	v_mul_f32_e32 v1, 0x4f7ffffe, v1
	v_cvt_u32_f32_e32 v1, v1
	v_readfirstlane_b32 s1, v1
	s_mul_i32 s0, s0, s1
	s_mul_hi_u32 s0, s1, s0
	s_add_i32 s1, s1, s0
	s_mul_hi_u32 s0, s20, s1
	s_mul_i32 s0, s0, s8
	s_sub_i32 s0, s20, s0
	s_sub_i32 s1, s0, s8
	s_cmp_ge_u32 s0, s8
	s_cselect_b32 s0, s1, s0
	s_sub_i32 s1, s0, s8
	s_cmp_ge_u32 s0, s8
	s_cselect_b32 s0, s1, s0
.LBB0_4:
	s_mul_i32 s1, s8, s19
	s_mul_hi_u32 s21, s8, s18
	s_add_i32 s1, s21, s1
	s_mul_i32 s9, s9, s18
	s_mul_i32 s26, s8, s18
	s_load_dwordx2 s[12:13], s[4:5], 0x50
	s_load_dwordx2 s[14:15], s[4:5], 0x0
	s_add_i32 s27, s1, s9
	s_load_dwordx2 s[8:9], s[2:3], 0x0
	s_load_dwordx2 s[22:23], s[2:3], 0x10
	v_mov_b32_e32 v1, s26
	v_mov_b32_e32 v2, s27
	v_cmp_lt_u64_e32 vcc, s[6:7], v[1:2]
	s_mov_b64 s[24:25], 0
	s_cbranch_vccnz .LBB0_6
; %bb.5:
	v_cvt_f32_u32_e32 v1, s26
	s_sub_i32 s1, 0, s26
	v_rcp_iflag_f32_e32 v1, v1
	v_mul_f32_e32 v1, 0x4f7ffffe, v1
	v_cvt_u32_f32_e32 v1, v1
	v_readfirstlane_b32 s7, v1
	s_mul_i32 s1, s1, s7
	s_mul_hi_u32 s1, s7, s1
	s_add_i32 s7, s7, s1
	s_mul_hi_u32 s1, s6, s7
	s_mul_i32 s21, s1, s26
	s_sub_i32 s21, s6, s21
	s_add_i32 s7, s1, 1
	s_sub_i32 s24, s21, s26
	s_cmp_ge_u32 s21, s26
	s_cselect_b32 s1, s7, s1
	s_cselect_b32 s21, s24, s21
	s_add_i32 s7, s1, 1
	s_cmp_ge_u32 s21, s26
	s_cselect_b32 s24, s7, s1
.LBB0_6:
	s_mul_i32 s1, s20, s19
	s_mul_hi_u32 s7, s20, s18
	s_add_i32 s7, s7, s1
	s_mul_i32 s1, s20, s18
	s_sub_u32 s1, s6, s1
	s_subb_u32 s6, 0, s7
	s_mul_i32 s6, s6, 20
	s_mul_hi_u32 s7, s1, 20
	s_load_dwordx2 s[2:3], s[2:3], 0x18
	s_add_i32 s6, s7, s6
	s_mul_i32 s1, s1, 20
	s_mul_i32 s7, s10, s6
	s_mul_hi_u32 s18, s10, s1
	s_add_i32 s7, s18, s7
	s_mul_i32 s18, s11, s1
	s_waitcnt lgkmcnt(0)
	s_mul_i32 s19, s23, s0
	s_mul_hi_u32 s20, s22, s0
	s_add_i32 s7, s7, s18
	s_mul_i32 s18, s10, s1
	s_add_i32 s20, s20, s19
	s_mul_i32 s0, s22, s0
	v_mul_u32_u24_e32 v1, 0xccd, v0
	s_add_u32 s0, s0, s18
	s_mul_i32 s3, s3, s24
	s_mul_hi_u32 s18, s2, s24
	v_lshrrev_b32_e32 v13, 16, v1
	s_addc_u32 s7, s20, s7
	s_add_i32 s18, s18, s3
	s_mul_i32 s2, s2, s24
	v_mul_lo_u16_e32 v1, 20, v13
	s_add_u32 s2, s2, s0
	v_sub_u16_e32 v12, v0, v1
	s_addc_u32 s3, s18, s7
	v_mov_b32_e32 v1, s6
	v_add_co_u32_e32 v9, vcc, s1, v12
	v_addc_co_u32_e32 v10, vcc, 0, v1, vcc
	s_add_u32 s0, s1, 20
	v_mov_b32_e32 v1, s16
	s_addc_u32 s1, s6, 0
	v_mov_b32_e32 v2, s17
	v_cmp_le_u64_e32 vcc, s[0:1], v[1:2]
	v_cmp_gt_u64_e64 s[0:1], s[16:17], v[9:10]
                                        ; implicit-def: $vgpr11
                                        ; implicit-def: $vgpr4
                                        ; implicit-def: $vgpr8
                                        ; implicit-def: $vgpr6
                                        ; implicit-def: $vgpr2
	s_or_b64 s[0:1], vcc, s[0:1]
	s_and_saveexec_b64 s[6:7], s[0:1]
	s_cbranch_execz .LBB0_8
; %bb.7:
	v_mad_u64_u32 v[1:2], s[16:17], s10, v12, 0
	v_mad_u64_u32 v[3:4], s[16:17], s8, v13, 0
	v_add_u32_e32 v8, 25, v13
	v_mad_u64_u32 v[5:6], s[16:17], s11, v12, v[2:3]
	v_mov_b32_e32 v2, v4
	v_mad_u64_u32 v[6:7], s[16:17], s9, v13, v[2:3]
	s_lshl_b64 s[16:17], s[2:3], 3
	s_add_u32 s18, s12, s16
	s_addc_u32 s16, s13, s17
	v_mov_b32_e32 v2, v5
	v_mov_b32_e32 v4, v6
	;; [unrolled: 1-line block ×3, first 2 shown]
	v_mad_u64_u32 v[5:6], s[16:17], s8, v8, 0
	v_lshlrev_b64 v[1:2], 3, v[1:2]
	v_add_co_u32_e32 v24, vcc, s18, v1
	v_addc_co_u32_e32 v25, vcc, v7, v2, vcc
	v_lshlrev_b64 v[1:2], 3, v[3:4]
	v_mov_b32_e32 v3, v6
	v_mad_u64_u32 v[3:4], s[16:17], s9, v8, v[3:4]
	v_add_u32_e32 v4, 50, v13
	v_mad_u64_u32 v[7:8], s[16:17], s8, v4, 0
	v_add_co_u32_e32 v10, vcc, v24, v1
	v_mov_b32_e32 v6, v3
	v_mov_b32_e32 v3, v8
	v_addc_co_u32_e32 v11, vcc, v25, v2, vcc
	v_lshlrev_b64 v[1:2], 3, v[5:6]
	v_mad_u64_u32 v[3:4], s[16:17], s9, v4, v[3:4]
	v_add_u32_e32 v6, 0x4b, v13
	v_mad_u64_u32 v[4:5], s[16:17], s8, v6, 0
	v_mov_b32_e32 v8, v3
	v_add_co_u32_e32 v14, vcc, v24, v1
	v_mov_b32_e32 v3, v5
	v_mad_u64_u32 v[5:6], s[16:17], s9, v6, v[3:4]
	v_addc_co_u32_e32 v15, vcc, v25, v2, vcc
	v_lshlrev_b64 v[1:2], 3, v[7:8]
	v_add_u32_e32 v3, 0x64, v13
	v_mad_u64_u32 v[18:19], s[16:17], s8, v3, 0
	v_add_co_u32_e32 v16, vcc, v24, v1
	v_addc_co_u32_e32 v17, vcc, v25, v2, vcc
	v_lshlrev_b64 v[1:2], 3, v[4:5]
	v_add_co_u32_e32 v20, vcc, v24, v1
	v_mov_b32_e32 v1, v19
	v_mad_u64_u32 v[22:23], s[16:17], s9, v3, v[1:2]
	v_addc_co_u32_e32 v21, vcc, v25, v2, vcc
	v_mov_b32_e32 v19, v22
	global_load_dwordx2 v[1:2], v[10:11], off
	global_load_dwordx2 v[5:6], v[14:15], off
	global_load_dwordx2 v[7:8], v[16:17], off
	global_load_dwordx2 v[3:4], v[20:21], off
	v_lshlrev_b64 v[10:11], 3, v[18:19]
	v_add_co_u32_e32 v10, vcc, v24, v10
	v_addc_co_u32_e32 v11, vcc, v25, v11, vcc
	global_load_dwordx2 v[10:11], v[10:11], off
.LBB0_8:
	s_or_b64 exec, exec, s[6:7]
	s_waitcnt vmcnt(1)
	v_add_f32_e32 v14, v3, v7
	v_fma_f32 v14, -0.5, v14, v1
	s_waitcnt vmcnt(0)
	v_sub_f32_e32 v17, v6, v11
	v_mov_b32_e32 v16, v14
	v_sub_f32_e32 v18, v5, v7
	v_sub_f32_e32 v19, v10, v3
	v_fmac_f32_e32 v16, 0x3f737871, v17
	v_add_f32_e32 v18, v19, v18
	v_sub_f32_e32 v19, v8, v4
	v_fmac_f32_e32 v14, 0xbf737871, v17
	v_fmac_f32_e32 v16, 0x3f167918, v19
	;; [unrolled: 1-line block ×5, first 2 shown]
	v_add_f32_e32 v18, v10, v5
	v_add_f32_e32 v15, v5, v1
	v_fmac_f32_e32 v1, -0.5, v18
	v_sub_f32_e32 v18, v7, v5
	v_sub_f32_e32 v20, v3, v10
	v_add_f32_e32 v20, v20, v18
	v_mov_b32_e32 v18, v1
	v_fmac_f32_e32 v18, 0xbf737871, v19
	v_fmac_f32_e32 v1, 0x3f737871, v19
	;; [unrolled: 1-line block ×4, first 2 shown]
	v_add_f32_e32 v15, v7, v15
	v_add_f32_e32 v17, v6, v2
	;; [unrolled: 1-line block ×4, first 2 shown]
	v_fmac_f32_e32 v18, 0x3e9e377a, v20
	v_fmac_f32_e32 v1, 0x3e9e377a, v20
	v_add_f32_e32 v17, v4, v17
	v_add_f32_e32 v20, v10, v15
	;; [unrolled: 1-line block ×4, first 2 shown]
	v_fma_f32 v15, -0.5, v15, v2
	v_sub_f32_e32 v17, v6, v8
	v_sub_f32_e32 v19, v11, v4
	v_add_f32_e32 v19, v19, v17
	v_mov_b32_e32 v17, v15
	v_sub_f32_e32 v5, v5, v10
	v_fmac_f32_e32 v17, 0xbf737871, v5
	v_sub_f32_e32 v3, v7, v3
	v_fmac_f32_e32 v15, 0x3f737871, v5
	v_sub_f32_e32 v7, v8, v6
	v_add_f32_e32 v6, v11, v6
	v_fmac_f32_e32 v17, 0xbf167918, v3
	v_fmac_f32_e32 v15, 0x3f167918, v3
	v_fmac_f32_e32 v2, -0.5, v6
	v_fmac_f32_e32 v17, 0x3e9e377a, v19
	v_fmac_f32_e32 v15, 0x3e9e377a, v19
	v_mov_b32_e32 v19, v2
	v_fmac_f32_e32 v19, 0x3f737871, v3
	v_sub_f32_e32 v4, v4, v11
	v_fmac_f32_e32 v2, 0xbf737871, v3
	v_mul_u32_u24_e32 v3, 0x320, v13
	v_lshlrev_b32_e32 v22, 3, v12
	v_fmac_f32_e32 v19, 0xbf167918, v5
	v_add_f32_e32 v4, v4, v7
	v_fmac_f32_e32 v2, 0x3f167918, v5
	v_add3_u32 v10, 0, v3, v22
	v_fmac_f32_e32 v19, 0x3e9e377a, v4
	v_fmac_f32_e32 v2, 0x3e9e377a, v4
	ds_write2_b64 v10, v[20:21], v[16:17] offset1:20
	ds_write2_b64 v10, v[18:19], v[1:2] offset0:40 offset1:60
	ds_write_b64 v10, v[14:15] offset:640
	v_mul_lo_u16_e32 v1, 52, v13
	v_lshrrev_b16_e32 v21, 8, v1
	v_mul_lo_u16_e32 v1, 5, v21
	v_sub_u16_e32 v1, v13, v1
	v_and_b32_e32 v23, 0xff, v1
	v_lshlrev_b32_e32 v11, 5, v23
	s_waitcnt lgkmcnt(0)
	s_barrier
	global_load_dwordx4 v[1:4], v11, s[14:15]
	global_load_dwordx4 v[5:8], v11, s[14:15] offset:16
	s_movk_i32 s6, 0xfd80
	v_mad_i32_i24 v14, v13, s6, v10
	ds_read_b64 v[10:11], v14 offset:4000
	ds_read_b64 v[15:16], v14 offset:8000
	;; [unrolled: 1-line block ×3, first 2 shown]
	ds_read2_b32 v[19:20], v14 offset1:1
	s_waitcnt vmcnt(1) lgkmcnt(3)
	v_mul_f32_e32 v24, v2, v11
	v_mul_f32_e32 v25, v2, v10
	s_waitcnt lgkmcnt(2)
	v_mul_f32_e32 v2, v4, v16
	v_fma_f32 v10, v1, v10, -v24
	v_fmac_f32_e32 v25, v1, v11
	v_mul_f32_e32 v11, v4, v15
	v_fma_f32 v4, v3, v15, -v2
	ds_read_b64 v[1:2], v14 offset:16000
	v_fmac_f32_e32 v11, v3, v16
	s_waitcnt vmcnt(0) lgkmcnt(2)
	v_mul_f32_e32 v3, v6, v18
	v_fma_f32 v15, v5, v17, -v3
	v_mul_f32_e32 v6, v6, v17
	s_waitcnt lgkmcnt(0)
	v_mul_f32_e32 v3, v8, v2
	v_fma_f32 v16, v7, v1, -v3
	v_mul_f32_e32 v17, v8, v1
	v_add_f32_e32 v1, v4, v15
	v_fmac_f32_e32 v17, v7, v2
	v_fma_f32 v1, -0.5, v1, v19
	v_sub_f32_e32 v2, v10, v4
	v_sub_f32_e32 v3, v16, v15
	v_fmac_f32_e32 v6, v5, v18
	v_add_f32_e32 v2, v2, v3
	v_sub_f32_e32 v7, v25, v17
	v_mov_b32_e32 v3, v1
	v_fmac_f32_e32 v3, 0x3f737871, v7
	v_sub_f32_e32 v8, v11, v6
	v_fmac_f32_e32 v1, 0xbf737871, v7
	v_fmac_f32_e32 v3, 0x3f167918, v8
	;; [unrolled: 1-line block ×3, first 2 shown]
	v_add_f32_e32 v5, v10, v16
	v_fmac_f32_e32 v3, 0x3e9e377a, v2
	v_fmac_f32_e32 v1, 0x3e9e377a, v2
	v_add_f32_e32 v2, v10, v19
	v_fma_f32 v19, -0.5, v5, v19
	v_sub_f32_e32 v5, v4, v10
	v_sub_f32_e32 v18, v15, v16
	v_add_f32_e32 v18, v5, v18
	v_mov_b32_e32 v5, v19
	v_fmac_f32_e32 v5, 0xbf737871, v8
	v_fmac_f32_e32 v19, 0x3f737871, v8
	;; [unrolled: 1-line block ×4, first 2 shown]
	v_add_f32_e32 v2, v2, v4
	v_add_f32_e32 v7, v20, v25
	;; [unrolled: 1-line block ×7, first 2 shown]
	v_fma_f32 v2, -0.5, v2, v20
	v_sub_f32_e32 v10, v10, v16
	v_sub_f32_e32 v15, v4, v15
	;; [unrolled: 1-line block ×4, first 2 shown]
	v_add_f32_e32 v16, v4, v16
	v_mov_b32_e32 v4, v2
	v_fmac_f32_e32 v4, 0xbf737871, v10
	v_fmac_f32_e32 v2, 0x3f737871, v10
	v_fmac_f32_e32 v4, 0xbf167918, v15
	v_fmac_f32_e32 v2, 0x3f167918, v15
	v_fmac_f32_e32 v4, 0x3e9e377a, v16
	v_fmac_f32_e32 v2, 0x3e9e377a, v16
	v_add_f32_e32 v16, v25, v17
	v_fmac_f32_e32 v20, -0.5, v16
	v_sub_f32_e32 v16, v6, v17
	v_mov_b32_e32 v6, v20
	v_fmac_f32_e32 v6, 0x3f737871, v15
	v_fmac_f32_e32 v20, 0xbf737871, v15
	;; [unrolled: 1-line block ×4, first 2 shown]
	v_mad_u32_u24 v10, v21, 25, v23
	v_sub_f32_e32 v11, v11, v25
	v_mul_u32_u24_e32 v10, 0xa0, v10
	v_add_f32_e32 v8, v8, v17
	v_add_f32_e32 v11, v11, v16
	v_add3_u32 v10, 0, v10, v22
	v_fmac_f32_e32 v5, 0x3e9e377a, v18
	v_fmac_f32_e32 v19, 0x3e9e377a, v18
	;; [unrolled: 1-line block ×4, first 2 shown]
	s_barrier
	ds_write2_b64 v10, v[7:8], v[3:4] offset1:100
	v_add_u32_e32 v3, 0x400, v10
	ds_write2_b64 v3, v[5:6], v[19:20] offset0:72 offset1:172
	ds_write_b64 v10, v[1:2] offset:3200
	s_waitcnt lgkmcnt(0)
	s_barrier
	s_and_saveexec_b64 s[6:7], s[0:1]
	s_cbranch_execz .LBB0_10
; %bb.9:
	v_mul_lo_u16_e32 v1, 21, v13
	v_lshrrev_b16_e32 v1, 9, v1
	v_mul_lo_u16_e32 v1, 25, v1
	v_sub_u16_e32 v1, v13, v1
	v_and_b32_e32 v13, 0xff, v1
	v_lshlrev_b32_e32 v10, 5, v13
	global_load_dwordx4 v[5:8], v10, s[14:15] offset:160
	global_load_dwordx4 v[1:4], v10, s[14:15] offset:176
	ds_read_b64 v[10:11], v14 offset:12000
	ds_read_b64 v[16:17], v14 offset:16000
	;; [unrolled: 1-line block ×4, first 2 shown]
	ds_read2_b32 v[22:23], v14 offset1:1
	v_add_u32_e32 v14, 0x64, v13
	s_load_dwordx2 s[0:1], s[4:5], 0x8
	v_add_u32_e32 v24, 0x4b, v13
	v_mul_lo_u32 v14, v9, v14
	v_mul_lo_u32 v24, v9, v24
	v_add_u32_e32 v25, 50, v13
	v_mov_b32_e32 v15, 3
	v_add_u32_e32 v26, 25, v13
	v_mul_lo_u32 v32, v9, v25
	v_mul_lo_u32 v33, v9, v26
	v_lshlrev_b32_sdwa v34, v15, v14 dst_sel:DWORD dst_unused:UNUSED_PAD src0_sel:DWORD src1_sel:BYTE_0
	v_lshlrev_b32_sdwa v14, v15, v14 dst_sel:DWORD dst_unused:UNUSED_PAD src0_sel:DWORD src1_sel:BYTE_1
	v_lshlrev_b32_sdwa v35, v15, v24 dst_sel:DWORD dst_unused:UNUSED_PAD src0_sel:DWORD src1_sel:BYTE_0
	v_lshlrev_b32_sdwa v36, v15, v24 dst_sel:DWORD dst_unused:UNUSED_PAD src0_sel:DWORD src1_sel:BYTE_1
	s_waitcnt lgkmcnt(0)
	global_load_dwordx2 v[24:25], v34, s[0:1]
	global_load_dwordx2 v[26:27], v14, s[0:1] offset:2048
	global_load_dwordx2 v[28:29], v35, s[0:1]
	global_load_dwordx2 v[30:31], v36, s[0:1] offset:2048
	v_lshlrev_b32_sdwa v14, v15, v32 dst_sel:DWORD dst_unused:UNUSED_PAD src0_sel:DWORD src1_sel:BYTE_0
	s_waitcnt vmcnt(5)
	v_mul_f32_e32 v34, v8, v18
	v_mul_f32_e32 v8, v8, v19
	v_fmac_f32_e32 v34, v7, v19
	v_mul_f32_e32 v19, v6, v20
	v_mul_f32_e32 v6, v6, v21
	v_fmac_f32_e32 v19, v5, v21
	v_lshlrev_b32_sdwa v21, v15, v32 dst_sel:DWORD dst_unused:UNUSED_PAD src0_sel:DWORD src1_sel:BYTE_1
	s_waitcnt vmcnt(4)
	v_mul_f32_e32 v32, v2, v10
	v_mul_f32_e32 v2, v2, v11
	v_fma_f32 v18, v7, v18, -v8
	v_fma_f32 v20, v5, v20, -v6
	global_load_dwordx2 v[5:6], v14, s[0:1]
	global_load_dwordx2 v[7:8], v21, s[0:1] offset:2048
	v_lshlrev_b32_sdwa v14, v15, v33 dst_sel:DWORD dst_unused:UNUSED_PAD src0_sel:DWORD src1_sel:BYTE_0
	v_lshlrev_b32_sdwa v21, v15, v33 dst_sel:DWORD dst_unused:UNUSED_PAD src0_sel:DWORD src1_sel:BYTE_1
	v_fmac_f32_e32 v32, v1, v11
	v_fma_f32 v11, v1, v10, -v2
	v_mul_f32_e32 v33, v4, v16
	v_mul_f32_e32 v1, v4, v17
	v_fmac_f32_e32 v33, v3, v17
	v_fma_f32 v16, v3, v16, -v1
	global_load_dwordx2 v[1:2], v14, s[0:1]
	global_load_dwordx2 v[3:4], v21, s[0:1] offset:2048
	s_waitcnt vmcnt(6)
	v_mul_f32_e32 v17, v25, v27
	v_mul_f32_e32 v21, v24, v27
	v_fma_f32 v17, v24, v26, -v17
	v_fmac_f32_e32 v21, v25, v26
	s_waitcnt vmcnt(4)
	v_mul_f32_e32 v26, v29, v31
	v_mul_f32_e32 v27, v28, v31
	v_sub_f32_e32 v24, v20, v18
	v_sub_f32_e32 v25, v16, v11
	v_fma_f32 v26, v28, v30, -v26
	v_fmac_f32_e32 v27, v29, v30
	v_add_f32_e32 v28, v34, v32
	v_add_f32_e32 v29, v18, v11
	;; [unrolled: 1-line block ×3, first 2 shown]
	v_fma_f32 v25, -0.5, v28, v23
	v_fma_f32 v28, -0.5, v29, v22
	v_sub_f32_e32 v31, v20, v16
	v_sub_f32_e32 v35, v19, v33
	;; [unrolled: 1-line block ×6, first 2 shown]
	v_add_f32_e32 v14, v10, v14
	s_waitcnt vmcnt(2)
	v_mul_f32_e32 v30, v6, v8
	v_mul_f32_e32 v8, v5, v8
	v_fma_f32 v30, v5, v7, -v30
	v_fmac_f32_e32 v8, v6, v7
	s_waitcnt vmcnt(0)
	v_mul_f32_e32 v5, v2, v4
	v_mul_f32_e32 v29, v1, v4
	v_fma_f32 v38, v1, v3, -v5
	v_fmac_f32_e32 v29, v2, v3
	v_mov_b32_e32 v3, v25
	v_mov_b32_e32 v1, v28
	v_fmac_f32_e32 v3, 0x3f737871, v31
	v_fmac_f32_e32 v1, 0xbf737871, v35
	;; [unrolled: 1-line block ×6, first 2 shown]
	v_mul_f32_e32 v4, v3, v21
	v_mul_f32_e32 v2, v1, v21
	v_fma_f32 v1, v1, v17, -v4
	v_fmac_f32_e32 v2, v3, v17
	v_sub_f32_e32 v3, v34, v19
	v_sub_f32_e32 v4, v32, v33
	v_add_f32_e32 v5, v3, v4
	v_sub_f32_e32 v3, v18, v20
	v_sub_f32_e32 v4, v11, v16
	v_add_f32_e32 v6, v3, v4
	v_add_f32_e32 v3, v19, v33
	v_fma_f32 v17, -0.5, v3, v23
	v_add_f32_e32 v3, v20, v16
	v_fma_f32 v10, -0.5, v3, v22
	v_mov_b32_e32 v3, v10
	v_mov_b32_e32 v7, v17
	v_fmac_f32_e32 v3, 0x3f737871, v37
	v_fmac_f32_e32 v7, 0xbf737871, v36
	v_fmac_f32_e32 v3, 0xbf167918, v35
	v_fmac_f32_e32 v7, 0x3f167918, v31
	v_fmac_f32_e32 v3, 0x3e9e377a, v6
	v_fmac_f32_e32 v7, 0x3e9e377a, v5
	v_mul_f32_e32 v4, v3, v27
	v_mul_f32_e32 v21, v7, v27
	v_fmac_f32_e32 v4, v7, v26
	v_mul_lo_u32 v7, v9, v13
	v_fmac_f32_e32 v17, 0x3f737871, v36
	v_fmac_f32_e32 v17, 0xbf167918, v31
	v_fmac_f32_e32 v10, 0xbf737871, v37
	v_fmac_f32_e32 v17, 0x3e9e377a, v5
	v_fmac_f32_e32 v10, 0x3f167918, v35
	v_fma_f32 v3, v3, v26, -v21
	v_fmac_f32_e32 v10, 0x3e9e377a, v6
	v_mul_f32_e32 v5, v17, v8
	v_lshlrev_b32_sdwa v21, v15, v7 dst_sel:DWORD dst_unused:UNUSED_PAD src0_sel:DWORD src1_sel:BYTE_0
	v_mul_f32_e32 v6, v10, v8
	v_fma_f32 v5, v10, v30, -v5
	v_lshlrev_b32_sdwa v15, v15, v7 dst_sel:DWORD dst_unused:UNUSED_PAD src0_sel:DWORD src1_sel:BYTE_1
	global_load_dwordx2 v[7:8], v21, s[0:1]
	global_load_dwordx2 v[9:10], v15, s[0:1] offset:2048
	v_fmac_f32_e32 v6, v17, v30
	v_add_f32_e32 v17, v23, v19
	v_add_f32_e32 v17, v17, v34
	v_add_f32_e32 v17, v17, v32
	v_add_f32_e32 v19, v17, v33
	v_fmac_f32_e32 v25, 0xbf737871, v31
	v_fmac_f32_e32 v28, 0x3f737871, v35
	;; [unrolled: 1-line block ×6, first 2 shown]
	v_mul_f32_e32 v14, v25, v29
	v_mul_f32_e32 v15, v28, v29
	v_fma_f32 v14, v28, v38, -v14
	v_fmac_f32_e32 v15, v25, v38
	s_waitcnt vmcnt(0)
	v_mul_f32_e32 v17, v8, v10
	v_fma_f32 v21, v7, v9, -v17
	v_mul_f32_e32 v7, v7, v10
	v_fmac_f32_e32 v7, v8, v9
	v_mad_u64_u32 v[9:10], s[0:1], s10, v12, 0
	s_movk_i32 s0, 0x20d
	v_mul_u32_u24_sdwa v0, v0, s0 dst_sel:DWORD dst_unused:UNUSED_PAD src0_sel:WORD_0 src1_sel:DWORD
	v_add_f32_e32 v17, v20, v22
	v_lshrrev_b32_e32 v0, 18, v0
	v_add_f32_e32 v17, v17, v18
	v_mul_lo_u16_e32 v0, 0x7d, v0
	v_add_f32_e32 v11, v17, v11
	v_add_u32_e32 v20, v13, v0
	v_add_f32_e32 v18, v11, v16
	v_mad_u64_u32 v[16:17], s[0:1], s8, v20, 0
	v_mov_b32_e32 v0, v10
	v_mad_u64_u32 v[10:11], s[0:1], s11, v12, v[0:1]
	v_mov_b32_e32 v0, v17
	v_mad_u64_u32 v[11:12], s[0:1], s9, v20, v[0:1]
	s_lshl_b64 s[0:1], s[2:3], 3
	s_add_u32 s0, s12, s0
	v_lshlrev_b64 v[9:10], 3, v[9:10]
	v_mul_f32_e32 v0, v19, v7
	s_addc_u32 s1, s13, s1
	v_add_u32_e32 v13, 25, v20
	v_mul_f32_e32 v8, v18, v7
	v_fma_f32 v7, v18, v21, -v0
	v_mov_b32_e32 v17, v11
	v_mov_b32_e32 v0, s1
	v_add_co_u32_e32 v18, vcc, s0, v9
	v_mad_u64_u32 v[11:12], s[0:1], s8, v13, 0
	v_fmac_f32_e32 v8, v19, v21
	v_addc_co_u32_e32 v19, vcc, v0, v10, vcc
	v_mov_b32_e32 v0, v12
	v_mad_u64_u32 v[12:13], s[0:1], s9, v13, v[0:1]
	v_add_u32_e32 v13, 50, v20
	v_lshlrev_b64 v[9:10], 3, v[16:17]
	v_mad_u64_u32 v[16:17], s[0:1], s8, v13, 0
	v_add_co_u32_e32 v9, vcc, v18, v9
	v_addc_co_u32_e32 v10, vcc, v19, v10, vcc
	v_mov_b32_e32 v0, v17
	global_store_dwordx2 v[9:10], v[7:8], off
	v_mad_u64_u32 v[9:10], s[0:1], s9, v13, v[0:1]
	v_lshlrev_b64 v[7:8], 3, v[11:12]
	v_add_u32_e32 v11, 0x4b, v20
	v_mov_b32_e32 v17, v9
	v_mad_u64_u32 v[9:10], s[0:1], s8, v11, 0
	v_add_co_u32_e32 v7, vcc, v18, v7
	v_mov_b32_e32 v0, v10
	v_mad_u64_u32 v[10:11], s[0:1], s9, v11, v[0:1]
	v_add_u32_e32 v13, 0x64, v20
	v_addc_co_u32_e32 v8, vcc, v19, v8, vcc
	v_mad_u64_u32 v[11:12], s[0:1], s8, v13, 0
	global_store_dwordx2 v[7:8], v[14:15], off
	v_lshlrev_b64 v[7:8], 3, v[16:17]
	v_mov_b32_e32 v0, v12
	v_add_co_u32_e32 v7, vcc, v18, v7
	v_addc_co_u32_e32 v8, vcc, v19, v8, vcc
	global_store_dwordx2 v[7:8], v[5:6], off
	v_mad_u64_u32 v[7:8], s[0:1], s9, v13, v[0:1]
	v_lshlrev_b64 v[5:6], 3, v[9:10]
	v_add_co_u32_e32 v5, vcc, v18, v5
	v_addc_co_u32_e32 v6, vcc, v19, v6, vcc
	v_mov_b32_e32 v12, v7
	global_store_dwordx2 v[5:6], v[3:4], off
	v_lshlrev_b64 v[3:4], 3, v[11:12]
	v_add_co_u32_e32 v3, vcc, v18, v3
	v_addc_co_u32_e32 v4, vcc, v19, v4, vcc
	global_store_dwordx2 v[3:4], v[1:2], off
.LBB0_10:
	s_endpgm
	.section	.rodata,"a",@progbits
	.p2align	6, 0x0
	.amdhsa_kernel fft_rtc_fwd_len125_factors_5_5_5_wgs_500_tpt_25_dim3_sp_ip_CI_sbcc_twdbase8_2step_dirReg
		.amdhsa_group_segment_fixed_size 0
		.amdhsa_private_segment_fixed_size 0
		.amdhsa_kernarg_size 88
		.amdhsa_user_sgpr_count 6
		.amdhsa_user_sgpr_private_segment_buffer 1
		.amdhsa_user_sgpr_dispatch_ptr 0
		.amdhsa_user_sgpr_queue_ptr 0
		.amdhsa_user_sgpr_kernarg_segment_ptr 1
		.amdhsa_user_sgpr_dispatch_id 0
		.amdhsa_user_sgpr_flat_scratch_init 0
		.amdhsa_user_sgpr_private_segment_size 0
		.amdhsa_uses_dynamic_stack 0
		.amdhsa_system_sgpr_private_segment_wavefront_offset 0
		.amdhsa_system_sgpr_workgroup_id_x 1
		.amdhsa_system_sgpr_workgroup_id_y 0
		.amdhsa_system_sgpr_workgroup_id_z 0
		.amdhsa_system_sgpr_workgroup_info 0
		.amdhsa_system_vgpr_workitem_id 0
		.amdhsa_next_free_vgpr 39
		.amdhsa_next_free_sgpr 28
		.amdhsa_reserve_vcc 1
		.amdhsa_reserve_flat_scratch 0
		.amdhsa_float_round_mode_32 0
		.amdhsa_float_round_mode_16_64 0
		.amdhsa_float_denorm_mode_32 3
		.amdhsa_float_denorm_mode_16_64 3
		.amdhsa_dx10_clamp 1
		.amdhsa_ieee_mode 1
		.amdhsa_fp16_overflow 0
		.amdhsa_exception_fp_ieee_invalid_op 0
		.amdhsa_exception_fp_denorm_src 0
		.amdhsa_exception_fp_ieee_div_zero 0
		.amdhsa_exception_fp_ieee_overflow 0
		.amdhsa_exception_fp_ieee_underflow 0
		.amdhsa_exception_fp_ieee_inexact 0
		.amdhsa_exception_int_div_zero 0
	.end_amdhsa_kernel
	.text
.Lfunc_end0:
	.size	fft_rtc_fwd_len125_factors_5_5_5_wgs_500_tpt_25_dim3_sp_ip_CI_sbcc_twdbase8_2step_dirReg, .Lfunc_end0-fft_rtc_fwd_len125_factors_5_5_5_wgs_500_tpt_25_dim3_sp_ip_CI_sbcc_twdbase8_2step_dirReg
                                        ; -- End function
	.section	.AMDGPU.csdata,"",@progbits
; Kernel info:
; codeLenInByte = 3592
; NumSgprs: 32
; NumVgprs: 39
; ScratchSize: 0
; MemoryBound: 0
; FloatMode: 240
; IeeeMode: 1
; LDSByteSize: 0 bytes/workgroup (compile time only)
; SGPRBlocks: 3
; VGPRBlocks: 9
; NumSGPRsForWavesPerEU: 32
; NumVGPRsForWavesPerEU: 39
; Occupancy: 6
; WaveLimiterHint : 1
; COMPUTE_PGM_RSRC2:SCRATCH_EN: 0
; COMPUTE_PGM_RSRC2:USER_SGPR: 6
; COMPUTE_PGM_RSRC2:TRAP_HANDLER: 0
; COMPUTE_PGM_RSRC2:TGID_X_EN: 1
; COMPUTE_PGM_RSRC2:TGID_Y_EN: 0
; COMPUTE_PGM_RSRC2:TGID_Z_EN: 0
; COMPUTE_PGM_RSRC2:TIDIG_COMP_CNT: 0
	.type	__hip_cuid_8c87f25c22e15887,@object ; @__hip_cuid_8c87f25c22e15887
	.section	.bss,"aw",@nobits
	.globl	__hip_cuid_8c87f25c22e15887
__hip_cuid_8c87f25c22e15887:
	.byte	0                               ; 0x0
	.size	__hip_cuid_8c87f25c22e15887, 1

	.ident	"AMD clang version 19.0.0git (https://github.com/RadeonOpenCompute/llvm-project roc-6.4.0 25133 c7fe45cf4b819c5991fe208aaa96edf142730f1d)"
	.section	".note.GNU-stack","",@progbits
	.addrsig
	.addrsig_sym __hip_cuid_8c87f25c22e15887
	.amdgpu_metadata
---
amdhsa.kernels:
  - .args:
      - .actual_access:  read_only
        .address_space:  global
        .offset:         0
        .size:           8
        .value_kind:     global_buffer
      - .address_space:  global
        .offset:         8
        .size:           8
        .value_kind:     global_buffer
      - .actual_access:  read_only
        .address_space:  global
        .offset:         16
        .size:           8
        .value_kind:     global_buffer
      - .actual_access:  read_only
        .address_space:  global
        .offset:         24
        .size:           8
        .value_kind:     global_buffer
      - .offset:         32
        .size:           8
        .value_kind:     by_value
      - .actual_access:  read_only
        .address_space:  global
        .offset:         40
        .size:           8
        .value_kind:     global_buffer
      - .actual_access:  read_only
        .address_space:  global
        .offset:         48
        .size:           8
        .value_kind:     global_buffer
      - .offset:         56
        .size:           4
        .value_kind:     by_value
      - .actual_access:  read_only
        .address_space:  global
        .offset:         64
        .size:           8
        .value_kind:     global_buffer
      - .actual_access:  read_only
        .address_space:  global
        .offset:         72
        .size:           8
        .value_kind:     global_buffer
      - .address_space:  global
        .offset:         80
        .size:           8
        .value_kind:     global_buffer
    .group_segment_fixed_size: 0
    .kernarg_segment_align: 8
    .kernarg_segment_size: 88
    .language:       OpenCL C
    .language_version:
      - 2
      - 0
    .max_flat_workgroup_size: 500
    .name:           fft_rtc_fwd_len125_factors_5_5_5_wgs_500_tpt_25_dim3_sp_ip_CI_sbcc_twdbase8_2step_dirReg
    .private_segment_fixed_size: 0
    .sgpr_count:     32
    .sgpr_spill_count: 0
    .symbol:         fft_rtc_fwd_len125_factors_5_5_5_wgs_500_tpt_25_dim3_sp_ip_CI_sbcc_twdbase8_2step_dirReg.kd
    .uniform_work_group_size: 1
    .uses_dynamic_stack: false
    .vgpr_count:     39
    .vgpr_spill_count: 0
    .wavefront_size: 64
amdhsa.target:   amdgcn-amd-amdhsa--gfx906
amdhsa.version:
  - 1
  - 2
...

	.end_amdgpu_metadata
